;; amdgpu-corpus repo=ROCm/rocFFT kind=compiled arch=gfx950 opt=O3
	.text
	.amdgcn_target "amdgcn-amd-amdhsa--gfx950"
	.amdhsa_code_object_version 6
	.protected	fft_rtc_fwd_len100_factors_10_10_wgs_190_tpt_10_dim2_dp_ip_CI_sbcc_twdbase8_3step_dirReg_intrinsicReadWrite ; -- Begin function fft_rtc_fwd_len100_factors_10_10_wgs_190_tpt_10_dim2_dp_ip_CI_sbcc_twdbase8_3step_dirReg_intrinsicReadWrite
	.globl	fft_rtc_fwd_len100_factors_10_10_wgs_190_tpt_10_dim2_dp_ip_CI_sbcc_twdbase8_3step_dirReg_intrinsicReadWrite
	.p2align	8
	.type	fft_rtc_fwd_len100_factors_10_10_wgs_190_tpt_10_dim2_dp_ip_CI_sbcc_twdbase8_3step_dirReg_intrinsicReadWrite,@function
fft_rtc_fwd_len100_factors_10_10_wgs_190_tpt_10_dim2_dp_ip_CI_sbcc_twdbase8_3step_dirReg_intrinsicReadWrite: ; @fft_rtc_fwd_len100_factors_10_10_wgs_190_tpt_10_dim2_dp_ip_CI_sbcc_twdbase8_3step_dirReg_intrinsicReadWrite
; %bb.0:
	s_load_dwordx4 s[4:7], s[0:1], 0x10
	s_mov_b32 s3, 0
	s_waitcnt lgkmcnt(0)
	s_load_dwordx2 s[10:11], s[4:5], 0x8
	s_load_dwordx2 s[8:9], s[0:1], 0x50
	s_nop 0
	s_load_dwordx2 s[4:5], s[6:7], 0x0
	s_waitcnt lgkmcnt(0)
	s_add_u32 s5, s10, -1
	s_addc_u32 s12, s11, -1
	s_add_u32 s13, 0, 0x50d6f500
	s_addc_u32 s14, 0, 46
	s_mul_hi_u32 s16, s13, 0xffffffed
	s_add_i32 s14, s14, 0xd794330
	s_sub_i32 s16, s16, s13
	s_mul_i32 s19, s14, 0xffffffed
	s_mul_i32 s15, s13, 0xffffffed
	s_add_i32 s16, s16, s19
	s_mul_hi_u32 s17, s14, s15
	s_mul_i32 s18, s14, s15
	s_mul_i32 s20, s13, s16
	s_mul_hi_u32 s15, s13, s15
	s_mul_hi_u32 s19, s13, s16
	s_add_u32 s15, s15, s20
	s_addc_u32 s19, 0, s19
	s_add_u32 s15, s15, s18
	s_mul_hi_u32 s20, s14, s16
	s_addc_u32 s15, s19, s17
	s_addc_u32 s17, s20, 0
	s_mul_i32 s16, s14, s16
	s_add_u32 s15, s15, s16
	v_mov_b32_e32 v1, s15
	s_addc_u32 s16, 0, s17
	v_add_co_u32_e32 v1, vcc, s13, v1
	s_cmp_lg_u64 vcc, 0
	s_addc_u32 s13, s14, s16
	v_readfirstlane_b32 s16, v1
	s_mul_i32 s15, s5, s13
	s_mul_hi_u32 s17, s5, s16
	s_mul_hi_u32 s14, s5, s13
	s_add_u32 s15, s17, s15
	s_addc_u32 s14, 0, s14
	s_mul_hi_u32 s18, s12, s16
	s_mul_i32 s16, s12, s16
	s_add_u32 s15, s15, s16
	s_mul_hi_u32 s17, s12, s13
	s_addc_u32 s14, s14, s18
	s_addc_u32 s15, s17, 0
	s_mul_i32 s13, s12, s13
	s_add_u32 s13, s14, s13
	s_addc_u32 s14, 0, s15
	s_add_u32 s15, s13, 1
	s_addc_u32 s16, s14, 0
	s_add_u32 s17, s13, 2
	s_mul_i32 s19, s14, 19
	s_mul_hi_u32 s20, s13, 19
	s_addc_u32 s18, s14, 0
	s_add_i32 s20, s20, s19
	s_mul_i32 s19, s13, 19
	v_mov_b32_e32 v1, s19
	v_sub_co_u32_e32 v1, vcc, s5, v1
	s_cmp_lg_u64 vcc, 0
	s_subb_u32 s5, s12, s20
	v_subrev_co_u32_e32 v2, vcc, 19, v1
	s_cmp_lg_u64 vcc, 0
	s_subb_u32 s12, s5, 0
	v_readfirstlane_b32 s19, v2
	s_cmp_gt_u32 s19, 18
	s_cselect_b32 s19, -1, 0
	s_cmp_eq_u32 s12, 0
	s_cselect_b32 s12, s19, -1
	s_cmp_lg_u32 s12, 0
	s_cselect_b32 s12, s17, s15
	s_cselect_b32 s15, s18, s16
	v_readfirstlane_b32 s16, v1
	s_cmp_gt_u32 s16, 18
	s_cselect_b32 s16, -1, 0
	s_cmp_eq_u32 s5, 0
	s_cselect_b32 s5, s16, -1
	s_cmp_lg_u32 s5, 0
	s_cselect_b32 s12, s12, s13
	s_cselect_b32 s5, s15, s14
	s_add_u32 s12, s12, 1
	s_addc_u32 s13, s5, 0
	v_mov_b64_e32 v[2:3], s[12:13]
	v_cmp_lt_u64_e32 vcc, s[2:3], v[2:3]
	s_mov_b64 s[14:15], 0
	s_cbranch_vccnz .LBB0_2
; %bb.1:
	v_cvt_f32_u32_e32 v1, s12
	s_sub_i32 s3, 0, s12
	v_rcp_iflag_f32_e32 v1, v1
	s_nop 0
	v_mul_f32_e32 v1, 0x4f7ffffe, v1
	v_cvt_u32_f32_e32 v1, v1
	s_nop 0
	v_readfirstlane_b32 s5, v1
	s_mul_i32 s3, s3, s5
	s_mul_hi_u32 s3, s5, s3
	s_add_i32 s5, s5, s3
	s_mul_hi_u32 s3, s2, s5
	s_mul_i32 s14, s3, s12
	s_sub_i32 s14, s2, s14
	s_add_i32 s5, s3, 1
	s_sub_i32 s15, s14, s12
	s_cmp_ge_u32 s14, s12
	s_cselect_b32 s3, s5, s3
	s_cselect_b32 s14, s15, s14
	s_add_i32 s5, s3, 1
	s_cmp_ge_u32 s14, s12
	s_cselect_b32 s14, s5, s3
.LBB0_2:
	s_mul_i32 s3, s14, s13
	s_mul_hi_u32 s5, s14, s12
	s_load_dwordx4 s[16:19], s[6:7], 0x8
	s_add_i32 s5, s5, s3
	s_mul_i32 s3, s14, s12
	s_sub_u32 s2, s2, s3
	v_mul_u32_u24_e32 v1, 0xd7a, v0
	s_subb_u32 s3, 0, s5
	v_lshrrev_b32_e32 v48, 16, v1
	s_mul_i32 s6, s3, 19
	s_mul_hi_u32 s3, s2, 19
	s_mul_i32 s12, s2, 19
	v_mul_lo_u16_e32 v1, 19, v48
	s_add_i32 s7, s3, s6
	s_waitcnt lgkmcnt(0)
	s_mul_i32 s3, s12, s16
	s_mul_i32 s5, s18, s14
	v_sub_u16_e32 v42, v0, v1
	v_mov_b32_e32 v43, 0
	s_add_u32 s5, s5, s3
	v_mad_u64_u32 v[74:75], s[2:3], s2, 19, v[42:43]
	s_add_u32 s2, s12, 19
	s_addc_u32 s3, s7, 0
	v_mov_b64_e32 v[2:3], s[10:11]
	v_add_u32_e32 v75, s6, v75
	v_cmp_le_u64_e32 vcc, s[2:3], v[2:3]
	v_mad_u64_u32 v[98:99], s[2:3], s16, v42, 0
	v_cmp_gt_u64_e64 s[2:3], s[10:11], v[74:75]
	v_mov_b64_e32 v[8:9], 0
	s_or_b64 s[2:3], vcc, s[2:3]
	v_mov_b64_e32 v[4:5], v[8:9]
	v_mov_b64_e32 v[2:3], v[8:9]
	s_and_saveexec_b64 s[6:7], s[2:3]
	s_cbranch_execz .LBB0_4
; %bb.3:
	v_mul_lo_u32 v1, s4, v48
	v_add3_u32 v2, s5, v98, v1
	v_mov_b32_e32 v3, v43
	v_lshl_add_u64 v[2:3], v[2:3], 4, s[8:9]
	global_load_dwordx4 v[2:5], v[2:3], off
.LBB0_4:
	s_or_b64 exec, exec, s[6:7]
	v_mov_b64_e32 v[6:7], v[8:9]
	s_and_saveexec_b64 s[6:7], s[2:3]
	s_cbranch_execz .LBB0_6
; %bb.5:
	v_add_u32_e32 v1, 10, v48
	v_mul_lo_u32 v1, s4, v1
	v_add3_u32 v6, s5, v98, v1
	v_mov_b32_e32 v7, 0
	v_lshl_add_u64 v[6:7], v[6:7], 4, s[8:9]
	global_load_dwordx4 v[6:9], v[6:7], off
.LBB0_6:
	s_or_b64 exec, exec, s[6:7]
	v_mov_b64_e32 v[12:13], 0
	v_mov_b64_e32 v[20:21], v[12:13]
	v_mov_b64_e32 v[18:19], v[12:13]
	s_and_saveexec_b64 s[6:7], s[2:3]
	s_cbranch_execz .LBB0_8
; %bb.7:
	v_add_u32_e32 v1, 20, v48
	v_mul_lo_u32 v1, s4, v1
	v_add3_u32 v10, s5, v98, v1
	v_mov_b32_e32 v11, 0
	v_lshl_add_u64 v[10:11], v[10:11], 4, s[8:9]
	global_load_dwordx4 v[18:21], v[10:11], off
.LBB0_8:
	s_or_b64 exec, exec, s[6:7]
	v_mov_b64_e32 v[10:11], v[12:13]
	s_and_saveexec_b64 s[6:7], s[2:3]
	s_cbranch_execz .LBB0_10
; %bb.9:
	v_add_u32_e32 v1, 30, v48
	v_mul_lo_u32 v1, s4, v1
	v_add3_u32 v10, s5, v98, v1
	v_mov_b32_e32 v11, 0
	v_lshl_add_u64 v[10:11], v[10:11], 4, s[8:9]
	global_load_dwordx4 v[10:13], v[10:11], off
.LBB0_10:
	s_or_b64 exec, exec, s[6:7]
	v_mov_b64_e32 v[16:17], 0
	v_mov_b64_e32 v[28:29], v[16:17]
	v_mov_b64_e32 v[26:27], v[16:17]
	s_and_saveexec_b64 s[6:7], s[2:3]
	s_cbranch_execz .LBB0_12
; %bb.11:
	v_add_u32_e32 v1, 40, v48
	v_mul_lo_u32 v1, s4, v1
	v_add3_u32 v14, s5, v98, v1
	v_mov_b32_e32 v15, 0
	v_lshl_add_u64 v[14:15], v[14:15], 4, s[8:9]
	global_load_dwordx4 v[26:29], v[14:15], off
.LBB0_12:
	;; [unrolled: 26-line block ×3, first 2 shown]
	s_or_b64 exec, exec, s[6:7]
	v_mov_b64_e32 v[22:23], v[24:25]
	s_and_saveexec_b64 s[6:7], s[2:3]
	s_cbranch_execz .LBB0_18
; %bb.17:
	v_add_u32_e32 v1, 0x46, v48
	v_mul_lo_u32 v1, s4, v1
	v_add3_u32 v22, s5, v98, v1
	v_mov_b32_e32 v23, 0
	v_lshl_add_u64 v[22:23], v[22:23], 4, s[8:9]
	global_load_dwordx4 v[22:25], v[22:23], off
.LBB0_18:
	s_or_b64 exec, exec, s[6:7]
	v_mov_b64_e32 v[32:33], 0
	v_mov_b64_e32 v[40:41], v[32:33]
	;; [unrolled: 1-line block ×3, first 2 shown]
	s_and_saveexec_b64 s[6:7], s[2:3]
	s_cbranch_execz .LBB0_20
; %bb.19:
	v_or_b32_e32 v1, 0x50, v48
	v_mul_lo_u32 v1, s4, v1
	v_add3_u32 v30, s5, v98, v1
	v_mov_b32_e32 v31, 0
	v_lshl_add_u64 v[30:31], v[30:31], 4, s[8:9]
	global_load_dwordx4 v[38:41], v[30:31], off
.LBB0_20:
	s_or_b64 exec, exec, s[6:7]
	v_mov_b64_e32 v[30:31], v[32:33]
	s_and_saveexec_b64 s[6:7], s[2:3]
	s_cbranch_execz .LBB0_22
; %bb.21:
	v_add_u32_e32 v1, 0x5a, v48
	v_mul_lo_u32 v1, s4, v1
	v_add3_u32 v30, s5, v98, v1
	v_mov_b32_e32 v31, 0
	v_lshl_add_u64 v[30:31], v[30:31], 4, s[8:9]
	global_load_dwordx4 v[30:33], v[30:31], off
.LBB0_22:
	s_or_b64 exec, exec, s[6:7]
	s_waitcnt vmcnt(0)
	v_add_f64 v[44:45], v[26:27], v[34:35]
	s_mov_b32 s6, 0x134454ff
	v_fma_f64 v[44:45], -0.5, v[44:45], v[2:3]
	v_add_f64 v[52:53], v[20:21], -v[40:41]
	s_mov_b32 s7, 0x3fee6f0e
	s_mov_b32 s10, 0x4755a5e
	;; [unrolled: 1-line block ×4, first 2 shown]
	v_fma_f64 v[46:47], s[6:7], v[52:53], v[44:45]
	v_add_f64 v[54:55], v[28:29], -v[36:37]
	s_mov_b32 s11, 0x3fe2cf23
	v_add_f64 v[56:57], v[18:19], -v[26:27]
	v_add_f64 v[58:59], v[38:39], -v[34:35]
	s_mov_b32 s12, 0x372fe950
	v_fmac_f64_e32 v[44:45], s[16:17], v[52:53]
	s_mov_b32 s15, 0xbfe2cf23
	s_mov_b32 s14, s10
	v_fmac_f64_e32 v[46:47], s[10:11], v[54:55]
	v_add_f64 v[56:57], v[56:57], v[58:59]
	s_mov_b32 s13, 0x3fd3c6ef
	v_fmac_f64_e32 v[44:45], s[14:15], v[54:55]
	v_fmac_f64_e32 v[46:47], s[12:13], v[56:57]
	;; [unrolled: 1-line block ×3, first 2 shown]
	v_add_f64 v[56:57], v[18:19], v[38:39]
	v_add_f64 v[50:51], v[2:3], v[18:19]
	v_fmac_f64_e32 v[2:3], -0.5, v[56:57]
	v_add_f64 v[58:59], v[26:27], -v[18:19]
	v_add_f64 v[60:61], v[34:35], -v[38:39]
	v_fma_f64 v[56:57], s[16:17], v[54:55], v[2:3]
	v_add_f64 v[58:59], v[58:59], v[60:61]
	v_fmac_f64_e32 v[2:3], s[6:7], v[54:55]
	v_add_f64 v[60:61], v[26:27], -v[34:35]
	v_add_f64 v[26:27], v[50:51], v[26:27]
	v_add_f64 v[50:51], v[4:5], v[20:21]
	v_fmac_f64_e32 v[56:57], s[10:11], v[52:53]
	v_fmac_f64_e32 v[2:3], s[14:15], v[52:53]
	v_add_f64 v[52:53], v[28:29], v[36:37]
	v_add_f64 v[54:55], v[20:21], -v[28:29]
	v_add_f64 v[50:51], v[50:51], v[28:29]
	v_add_f64 v[28:29], v[28:29], -v[20:21]
	v_add_f64 v[20:21], v[20:21], v[40:41]
	v_fma_f64 v[52:53], -0.5, v[52:53], v[4:5]
	v_add_f64 v[26:27], v[26:27], v[34:35]
	v_fmac_f64_e32 v[4:5], -0.5, v[20:21]
	v_add_f64 v[18:19], v[18:19], -v[38:39]
	v_add_f64 v[26:27], v[26:27], v[38:39]
	v_fma_f64 v[38:39], s[6:7], v[60:61], v[4:5]
	v_add_f64 v[20:21], v[36:37], -v[40:41]
	v_fmac_f64_e32 v[4:5], s[16:17], v[60:61]
	v_fmac_f64_e32 v[56:57], s[12:13], v[58:59]
	;; [unrolled: 1-line block ×3, first 2 shown]
	v_add_f64 v[58:59], v[40:41], -v[36:37]
	v_fmac_f64_e32 v[38:39], s[14:15], v[18:19]
	v_add_f64 v[20:21], v[28:29], v[20:21]
	v_fmac_f64_e32 v[4:5], s[10:11], v[18:19]
	v_add_f64 v[54:55], v[54:55], v[58:59]
	v_fma_f64 v[58:59], s[16:17], v[18:19], v[52:53]
	v_fmac_f64_e32 v[52:53], s[6:7], v[18:19]
	v_fmac_f64_e32 v[38:39], s[12:13], v[20:21]
	;; [unrolled: 1-line block ×3, first 2 shown]
	v_add_f64 v[20:21], v[14:15], v[22:23]
	v_fmac_f64_e32 v[58:59], s[14:15], v[60:61]
	v_fmac_f64_e32 v[52:53], s[10:11], v[60:61]
	v_add_f64 v[34:35], v[50:51], v[36:37]
	v_fma_f64 v[20:21], -0.5, v[20:21], v[6:7]
	v_add_f64 v[28:29], v[12:13], -v[32:33]
	v_fmac_f64_e32 v[58:59], s[12:13], v[54:55]
	v_fmac_f64_e32 v[52:53], s[12:13], v[54:55]
	v_add_f64 v[34:35], v[34:35], v[40:41]
	v_fma_f64 v[36:37], s[6:7], v[28:29], v[20:21]
	v_add_f64 v[40:41], v[16:17], -v[24:25]
	v_add_f64 v[50:51], v[10:11], -v[14:15]
	;; [unrolled: 1-line block ×3, first 2 shown]
	v_fmac_f64_e32 v[20:21], s[16:17], v[28:29]
	v_fmac_f64_e32 v[36:37], s[10:11], v[40:41]
	v_add_f64 v[50:51], v[50:51], v[54:55]
	v_fmac_f64_e32 v[20:21], s[14:15], v[40:41]
	v_fmac_f64_e32 v[36:37], s[12:13], v[50:51]
	;; [unrolled: 1-line block ×3, first 2 shown]
	v_add_f64 v[50:51], v[10:11], v[30:31]
	v_add_f64 v[18:19], v[6:7], v[10:11]
	v_fmac_f64_e32 v[6:7], -0.5, v[50:51]
	v_add_f64 v[54:55], v[14:15], -v[10:11]
	v_add_f64 v[60:61], v[22:23], -v[30:31]
	v_fma_f64 v[50:51], s[16:17], v[40:41], v[6:7]
	v_add_f64 v[54:55], v[54:55], v[60:61]
	v_fmac_f64_e32 v[6:7], s[6:7], v[40:41]
	v_add_f64 v[60:61], v[14:15], -v[22:23]
	v_add_f64 v[14:15], v[18:19], v[14:15]
	v_add_f64 v[18:19], v[8:9], v[12:13]
	v_fmac_f64_e32 v[50:51], s[10:11], v[28:29]
	v_fmac_f64_e32 v[6:7], s[14:15], v[28:29]
	v_add_f64 v[28:29], v[16:17], v[24:25]
	v_add_f64 v[40:41], v[12:13], -v[16:17]
	v_add_f64 v[18:19], v[18:19], v[16:17]
	v_add_f64 v[16:17], v[16:17], -v[12:13]
	v_add_f64 v[14:15], v[14:15], v[22:23]
	v_add_f64 v[12:13], v[12:13], v[32:33]
	v_fma_f64 v[28:29], -0.5, v[28:29], v[8:9]
	v_add_f64 v[22:23], v[14:15], v[30:31]
	v_add_f64 v[14:15], v[18:19], v[24:25]
	v_fmac_f64_e32 v[8:9], -0.5, v[12:13]
	v_add_f64 v[10:11], v[10:11], -v[30:31]
	v_add_f64 v[30:31], v[14:15], v[32:33]
	v_fma_f64 v[12:13], s[6:7], v[60:61], v[8:9]
	v_add_f64 v[14:15], v[24:25], -v[32:33]
	v_fmac_f64_e32 v[8:9], s[16:17], v[60:61]
	v_fmac_f64_e32 v[50:51], s[12:13], v[54:55]
	v_fmac_f64_e32 v[6:7], s[12:13], v[54:55]
	v_add_f64 v[54:55], v[32:33], -v[24:25]
	v_add_f64 v[14:15], v[16:17], v[14:15]
	v_fmac_f64_e32 v[8:9], s[10:11], v[10:11]
	v_add_f64 v[40:41], v[40:41], v[54:55]
	v_fma_f64 v[54:55], s[16:17], v[10:11], v[28:29]
	v_fmac_f64_e32 v[28:29], s[6:7], v[10:11]
	v_fmac_f64_e32 v[8:9], s[12:13], v[14:15]
	s_mov_b32 s18, 0x9b97f4a8
	v_mul_f64 v[16:17], v[6:7], s[12:13]
	v_fmac_f64_e32 v[54:55], s[14:15], v[60:61]
	v_fmac_f64_e32 v[28:29], s[10:11], v[60:61]
	s_mov_b32 s19, 0x3fe9e377
	v_fma_f64 v[60:61], v[8:9], s[6:7], -v[16:17]
	v_mul_f64 v[8:9], v[8:9], s[12:13]
	v_fmac_f64_e32 v[54:55], s[12:13], v[40:41]
	v_fmac_f64_e32 v[28:29], s[12:13], v[40:41]
	;; [unrolled: 1-line block ×3, first 2 shown]
	v_fma_f64 v[62:63], v[6:7], s[16:17], -v[8:9]
	v_mul_f64 v[64:65], v[36:37], s[14:15]
	v_mul_f64 v[8:9], v[20:21], s[18:19]
	s_movk_i32 s20, 0xbe0
	v_fmac_f64_e32 v[12:13], s[12:13], v[14:15]
	v_add_f64 v[10:11], v[26:27], v[22:23]
	v_mul_f64 v[32:33], v[54:55], s[10:11]
	v_mul_f64 v[40:41], v[50:51], s[12:13]
	v_fmac_f64_e32 v[64:65], s[18:19], v[54:55]
	v_fma_f64 v[54:55], v[28:29], s[10:11], -v[8:9]
	v_mul_f64 v[50:51], v[50:51], s[16:17]
	v_mul_f64 v[8:9], v[28:29], s[18:19]
	v_add_f64 v[24:25], v[26:27], -v[22:23]
	v_mad_u32_u24 v22, v48, s20, 0
	v_fmac_f64_e32 v[32:33], s[18:19], v[36:37]
	v_fmac_f64_e32 v[40:41], s[6:7], v[12:13]
	;; [unrolled: 1-line block ×3, first 2 shown]
	v_fma_f64 v[66:67], v[20:21], s[14:15], -v[8:9]
	v_add_f64 v[12:13], v[34:35], v[30:31]
	v_lshl_add_u32 v1, v42, 4, v22
	v_add_f64 v[14:15], v[46:47], v[32:33]
	v_add_f64 v[6:7], v[56:57], v[40:41]
	;; [unrolled: 1-line block ×3, first 2 shown]
	v_add_f64 v[26:27], v[34:35], -v[30:31]
	v_add_f64 v[28:29], v[44:45], v[54:55]
	v_add_f64 v[16:17], v[58:59], v[64:65]
	;; [unrolled: 1-line block ×5, first 2 shown]
	v_add_f64 v[32:33], v[46:47], -v[32:33]
	v_add_f64 v[36:37], v[56:57], -v[40:41]
	;; [unrolled: 1-line block ×8, first 2 shown]
	ds_write_b128 v1, v[10:13]
	ds_write_b128 v1, v[14:17] offset:304
	ds_write_b128 v1, v[6:9] offset:608
	;; [unrolled: 1-line block ×9, first 2 shown]
	s_waitcnt lgkmcnt(0)
	s_barrier
	s_and_saveexec_b64 s[20:21], s[2:3]
	s_cbranch_execz .LBB0_24
; %bb.23:
	v_mul_lo_u16_e32 v1, 26, v48
	v_mov_b32_e32 v2, 10
	s_load_dwordx4 s[0:3], s[0:1], 0x0
	v_mul_lo_u16_sdwa v1, v1, v2 dst_sel:DWORD dst_unused:UNUSED_PAD src0_sel:BYTE_1 src1_sel:DWORD
	v_sub_u16_e32 v1, v48, v1
	v_and_b32_e32 v1, 0xff, v1
	v_mul_u32_u24_e32 v2, 9, v1
	v_lshlrev_b32_e32 v23, 4, v2
	s_waitcnt lgkmcnt(0)
	global_load_dwordx4 v[2:5], v23, s[0:1] offset:48
	global_load_dwordx4 v[14:17], v23, s[0:1] offset:80
	;; [unrolled: 1-line block ×8, first 2 shown]
	v_mul_i32_i24_e32 v24, 0xfffff550, v48
	v_lshlrev_b32_e32 v25, 4, v42
	v_add3_u32 v75, v22, v24, v25
	ds_read_b128 v[90:93], v75 offset:6080
	ds_read_b128 v[94:97], v75 offset:9120
	;; [unrolled: 1-line block ×8, first 2 shown]
	v_add_u32_e32 v22, 0x5a, v1
	global_load_dwordx4 v[58:61], v23, s[0:1]
	v_mov_b32_e32 v77, 4
	v_mul_lo_u32 v135, v74, v22
	v_lshlrev_b32_sdwa v22, v77, v135 dst_sel:DWORD dst_unused:UNUSED_PAD src0_sel:DWORD src1_sel:BYTE_0
	global_load_dwordx4 v[42:45], v22, s[2:3]
	v_or_b32_e32 v24, 0x50, v1
	v_add_u32_e32 v25, 0x46, v1
	v_add_u32_e32 v26, 60, v1
	;; [unrolled: 1-line block ×4, first 2 shown]
	v_mul_lo_u32 v146, v74, v24
	v_mul_lo_u32 v134, v74, v25
	;; [unrolled: 1-line block ×5, first 2 shown]
	v_mov_b32_e32 v76, 0x1000
	v_bfe_u32 v23, v135, 8, 8
	v_bfe_u32 v24, v146, 8, 8
	;; [unrolled: 1-line block ×6, first 2 shown]
	v_lshlrev_b32_sdwa v38, v77, v146 dst_sel:DWORD dst_unused:UNUSED_PAD src0_sel:DWORD src1_sel:BYTE_0
	v_lshlrev_b32_sdwa v26, v77, v134 dst_sel:DWORD dst_unused:UNUSED_PAD src0_sel:DWORD src1_sel:BYTE_0
	v_lshlrev_b32_sdwa v39, v77, v133 dst_sel:DWORD dst_unused:UNUSED_PAD src0_sel:DWORD src1_sel:BYTE_0
	v_lshlrev_b32_sdwa v32, v77, v132 dst_sel:DWORD dst_unused:UNUSED_PAD src0_sel:DWORD src1_sel:BYTE_0
	v_lshlrev_b32_sdwa v54, v77, v99 dst_sel:DWORD dst_unused:UNUSED_PAD src0_sel:DWORD src1_sel:BYTE_0
	v_lshl_or_b32 v40, v23, 4, v76
	v_lshl_or_b32 v41, v24, 4, v76
	v_lshl_or_b32 v50, v25, 4, v76
	v_lshl_or_b32 v51, v30, 4, v76
	v_lshl_or_b32 v55, v31, 4, v76
	v_lshl_or_b32 v56, v33, 4, v76
	global_load_dwordx4 v[26:29], v26, s[2:3]
	v_mul_lo_u32 v161, v74, v1
	global_load_dwordx4 v[22:25], v32, s[2:3]
	global_load_dwordx4 v[70:73], v40, s[2:3]
	;; [unrolled: 1-line block ×5, first 2 shown]
	s_nop 0
	global_load_dwordx4 v[30:33], v39, s[2:3]
	global_load_dwordx4 v[34:37], v51, s[2:3]
                                        ; kill: killed $vgpr50
                                        ; kill: killed $vgpr38
                                        ; kill: killed $vgpr40
                                        ; kill: killed $vgpr51
                                        ; kill: killed $vgpr39
                                        ; kill: killed $vgpr41
	s_nop 0
	global_load_dwordx4 v[50:53], v55, s[2:3]
	global_load_dwordx4 v[38:41], v54, s[2:3]
                                        ; kill: killed $vgpr54
                                        ; kill: killed $vgpr55
	s_nop 0
	global_load_dwordx4 v[54:57], v56, s[2:3]
	v_mov_b32_e32 v162, 0x2000
	v_bfe_u32 v134, v134, 16, 8
	v_bfe_u32 v133, v133, 16, 8
	v_lshl_or_b32 v134, v134, 4, v162
	v_lshl_or_b32 v133, v133, 4, v162
	s_movk_i32 s0, 0x159
	v_mul_u32_u24_sdwa v0, v0, s0 dst_sel:DWORD dst_unused:UNUSED_PAD src0_sel:WORD_0 src1_sel:DWORD
	s_movk_i32 s0, 0x64
	v_mul_lo_u16_sdwa v0, v0, s0 dst_sel:DWORD dst_unused:UNUSED_PAD src0_sel:WORD_1 src1_sel:DWORD
	s_waitcnt vmcnt(20) lgkmcnt(5)
	v_mul_f64 v[100:101], v[104:105], v[4:5]
	v_mul_f64 v[4:5], v[106:107], v[4:5]
	v_fmac_f64_e32 v[100:101], v[106:107], v[2:3]
	s_waitcnt vmcnt(17) lgkmcnt(3)
	v_mul_f64 v[108:109], v[112:113], v[8:9]
	v_mul_f64 v[8:9], v[114:115], v[8:9]
	v_fma_f64 v[104:105], v[104:105], v[2:3], -v[4:5]
	s_waitcnt vmcnt(16)
	v_mul_f64 v[2:3], v[96:97], v[20:21]
	s_waitcnt lgkmcnt(1)
	v_mul_f64 v[102:103], v[116:117], v[16:17]
	v_mul_f64 v[16:17], v[118:119], v[16:17]
	v_fmac_f64_e32 v[108:109], v[114:115], v[6:7]
	v_fma_f64 v[112:113], v[112:113], v[6:7], -v[8:9]
	v_fma_f64 v[114:115], v[94:95], v[18:19], -v[2:3]
	s_waitcnt vmcnt(15)
	v_mul_f64 v[2:3], v[128:129], v[80:81]
	s_waitcnt vmcnt(13) lgkmcnt(0)
	v_mul_f64 v[6:7], v[142:143], v[88:89]
	v_fma_f64 v[106:107], v[116:117], v[14:15], -v[16:17]
	v_mul_f64 v[124:125], v[126:127], v[80:81]
	v_fma_f64 v[116:117], v[126:127], v[78:79], -v[2:3]
	v_fma_f64 v[126:127], v[140:141], v[86:87], -v[6:7]
	v_add_u32_e32 v6, 30, v1
	v_mul_lo_u32 v152, v74, v6
	v_mul_f64 v[110:111], v[90:91], v[12:13]
	v_mul_f64 v[12:13], v[92:93], v[12:13]
	v_fmac_f64_e32 v[102:103], v[118:119], v[14:15]
	v_bfe_u32 v6, v152, 8, 8
	v_add_u32_e32 v14, 20, v1
	v_fmac_f64_e32 v[110:111], v[92:93], v[10:11]
	v_fma_f64 v[118:119], v[90:91], v[10:11], -v[12:13]
	v_mul_f64 v[2:3], v[138:139], v[84:85]
	v_lshl_or_b32 v10, v6, 4, v76
	v_lshlrev_b32_sdwa v6, v77, v152 dst_sel:DWORD dst_unused:UNUSED_PAD src0_sel:DWORD src1_sel:BYTE_0
	v_mul_lo_u32 v156, v74, v14
	v_fmac_f64_e32 v[124:125], v[128:129], v[78:79]
	v_mul_f64 v[128:129], v[136:137], v[84:85]
	v_fma_f64 v[122:123], v[136:137], v[82:83], -v[2:3]
	ds_read_b128 v[2:5], v75 offset:3040
	global_load_dwordx4 v[6:9], v6, s[2:3]
	s_nop 0
	global_load_dwordx4 v[10:13], v10, s[2:3]
	v_lshlrev_b32_sdwa v14, v77, v156 dst_sel:DWORD dst_unused:UNUSED_PAD src0_sel:DWORD src1_sel:BYTE_0
	v_bfe_u32 v15, v156, 8, 8
	v_fmac_f64_e32 v[128:129], v[138:139], v[82:83]
	v_lshl_or_b32 v15, v15, 4, v76
	global_load_dwordx4 v[78:81], v14, s[2:3]
	global_load_dwordx4 v[82:85], v15, s[2:3]
	v_add_u32_e32 v14, 10, v1
	v_mul_lo_u32 v160, v74, v14
	v_mul_f64 v[120:121], v[94:95], v[20:21]
	v_bfe_u32 v14, v160, 8, 8
	v_fmac_f64_e32 v[120:121], v[96:97], v[18:19]
	v_mul_f64 v[130:131], v[140:141], v[88:89]
	v_lshl_or_b32 v18, v14, 4, v76
	v_lshlrev_b32_sdwa v14, v77, v160 dst_sel:DWORD dst_unused:UNUSED_PAD src0_sel:DWORD src1_sel:BYTE_0
	v_lshlrev_b32_sdwa v74, v77, v161 dst_sel:DWORD dst_unused:UNUSED_PAD src0_sel:DWORD src1_sel:BYTE_0
	v_bfe_u32 v77, v161, 8, 8
	s_waitcnt vmcnt(16) lgkmcnt(0)
	v_mul_f64 v[144:145], v[4:5], v[60:61]
	v_mul_f64 v[60:61], v[2:3], v[60:61]
	v_fmac_f64_e32 v[130:131], v[142:143], v[86:87]
	global_load_dwordx4 v[14:17], v14, s[2:3]
	s_nop 0
	global_load_dwordx4 v[18:21], v18, s[2:3]
	v_lshl_or_b32 v76, v77, 4, v76
	global_load_dwordx4 v[86:89], v74, s[2:3]
	global_load_dwordx4 v[90:93], v76, s[2:3]
	v_bfe_u32 v74, v135, 16, 8
	v_bfe_u32 v135, v146, 16, 8
	v_fma_f64 v[2:3], v[2:3], v[58:59], -v[144:145]
	v_fmac_f64_e32 v[60:61], v[4:5], v[58:59]
	v_bfe_u32 v4, v132, 16, 8
	v_bfe_u32 v58, v99, 16, 8
	v_lshl_or_b32 v135, v135, 4, v162
	v_lshl_or_b32 v4, v4, 4, v162
	v_lshl_or_b32 v58, v58, 4, v162
	global_load_dwordx4 v[136:139], v135, s[2:3]
	global_load_dwordx4 v[140:143], v134, s[2:3]
	;; [unrolled: 1-line block ×4, first 2 shown]
	v_lshl_or_b32 v74, v74, 4, v162
	global_load_dwordx4 v[132:135], v4, s[2:3]
	s_waitcnt vmcnt(21)
	v_mul_f64 v[4:5], v[44:45], v[72:73]
	v_fma_f64 v[58:59], v[42:43], v[70:71], -v[4:5]
	v_bfe_u32 v4, v152, 16, 8
	v_lshl_or_b32 v4, v4, 4, v162
	global_load_dwordx4 v[94:97], v74, s[2:3]
	global_load_dwordx4 v[152:155], v4, s[2:3]
	v_bfe_u32 v4, v156, 16, 8
	v_lshl_or_b32 v4, v4, 4, v162
	global_load_dwordx4 v[156:159], v4, s[2:3]
	v_bfe_u32 v4, v160, 16, 8
	v_mul_f64 v[72:73], v[42:43], v[72:73]
	v_lshl_or_b32 v4, v4, 4, v162
	v_fmac_f64_e32 v[72:73], v[44:45], v[70:71]
	global_load_dwordx4 v[42:45], v4, s[2:3]
	s_waitcnt vmcnt(23)
	v_mul_f64 v[4:5], v[64:65], v[68:69]
	v_fma_f64 v[70:71], v[62:63], v[66:67], -v[4:5]
	v_mul_f64 v[62:63], v[62:63], v[68:69]
	s_waitcnt vmcnt(22)
	v_mul_f64 v[4:5], v[28:29], v[48:49]
	v_fmac_f64_e32 v[62:63], v[64:65], v[66:67]
	v_fma_f64 v[64:65], v[26:27], v[46:47], -v[4:5]
	v_mul_f64 v[26:27], v[26:27], v[48:49]
	s_waitcnt vmcnt(20)
	v_mul_f64 v[4:5], v[32:33], v[36:37]
	v_fmac_f64_e32 v[26:27], v[28:29], v[46:47]
	v_fma_f64 v[28:29], v[30:31], v[34:35], -v[4:5]
	v_mul_f64 v[30:31], v[30:31], v[36:37]
	s_waitcnt vmcnt(19)
	v_mul_f64 v[4:5], v[24:25], v[52:53]
	v_fmac_f64_e32 v[30:31], v[32:33], v[34:35]
	v_fma_f64 v[32:33], v[22:23], v[50:51], -v[4:5]
	v_mul_f64 v[22:23], v[22:23], v[52:53]
	s_waitcnt vmcnt(17)
	v_mul_f64 v[4:5], v[40:41], v[56:57]
	v_fmac_f64_e32 v[22:23], v[24:25], v[50:51]
	v_fma_f64 v[24:25], v[38:39], v[54:55], -v[4:5]
	v_mul_f64 v[34:35], v[38:39], v[56:57]
	v_fmac_f64_e32 v[34:35], v[40:41], v[54:55]
	v_add_f64 v[68:69], v[120:121], -v[124:125]
	ds_read_b128 v[74:77], v75
	s_waitcnt vmcnt(15)
	v_mul_f64 v[4:5], v[8:9], v[12:13]
	v_fma_f64 v[36:37], v[6:7], v[10:11], -v[4:5]
	v_mul_f64 v[12:13], v[6:7], v[12:13]
	v_fmac_f64_e32 v[12:13], v[8:9], v[10:11]
	s_waitcnt vmcnt(13)
	v_mul_f64 v[4:5], v[80:81], v[84:85]
	v_fma_f64 v[8:9], v[78:79], v[82:83], -v[4:5]
	v_bfe_u32 v4, v161, 16, 8
	v_lshl_or_b32 v4, v4, 4, v162
	global_load_dwordx4 v[4:7], v4, s[2:3]
	v_mul_f64 v[10:11], v[78:79], v[84:85]
	v_fmac_f64_e32 v[10:11], v[80:81], v[82:83]
	v_add_f64 v[80:81], v[114:115], -v[116:117]
	v_add_f64 v[78:79], v[122:123], -v[126:127]
	s_waitcnt vmcnt(12)
	v_mul_f64 v[38:39], v[16:17], v[20:21]
	v_fma_f64 v[38:39], v[14:15], v[18:19], -v[38:39]
	v_mul_f64 v[14:15], v[14:15], v[20:21]
	v_fmac_f64_e32 v[14:15], v[16:17], v[18:19]
	s_waitcnt vmcnt(10)
	v_mul_f64 v[16:17], v[88:89], v[92:93]
	v_fma_f64 v[46:47], v[86:87], v[90:91], -v[16:17]
	v_mul_f64 v[48:49], v[86:87], v[92:93]
	v_fmac_f64_e32 v[48:49], v[90:91], v[88:89]
	v_add_f64 v[90:91], v[118:119], -v[112:113]
	v_add_f64 v[88:89], v[104:105], -v[106:107]
	s_waitcnt vmcnt(9)
	v_mul_f64 v[40:41], v[70:71], v[138:139]
	s_waitcnt vmcnt(8)
	v_mul_f64 v[52:53], v[64:65], v[142:143]
	v_mul_f64 v[50:51], v[26:27], v[142:143]
	v_fmac_f64_e32 v[52:53], v[140:141], v[26:27]
	s_waitcnt vmcnt(7)
	v_mul_f64 v[26:27], v[30:31], v[146:147]
	v_fma_f64 v[26:27], v[144:145], v[28:29], -v[26:27]
	v_mul_f64 v[28:29], v[28:29], v[146:147]
	v_fmac_f64_e32 v[28:29], v[144:145], v[30:31]
	s_waitcnt vmcnt(5)
	v_mul_f64 v[30:31], v[22:23], v[134:135]
	v_fma_f64 v[30:31], v[132:133], v[32:33], -v[30:31]
	v_mul_f64 v[32:33], v[32:33], v[134:135]
	v_mul_f64 v[56:57], v[24:25], v[150:151]
	v_fmac_f64_e32 v[32:33], v[132:133], v[22:23]
	v_mul_f64 v[22:23], v[34:35], v[150:151]
	v_fmac_f64_e32 v[56:57], v[148:149], v[34:35]
	s_waitcnt vmcnt(3)
	v_mul_f64 v[34:35], v[36:37], v[154:155]
	v_mul_f64 v[16:17], v[72:73], v[96:97]
	v_fma_f64 v[54:55], v[148:149], v[24:25], -v[22:23]
	v_mul_f64 v[22:23], v[12:13], v[154:155]
	v_fmac_f64_e32 v[34:35], v[152:153], v[12:13]
	s_waitcnt vmcnt(2)
	v_mul_f64 v[12:13], v[10:11], v[158:159]
	v_fma_f64 v[16:17], v[94:95], v[58:59], -v[16:17]
	v_mul_f64 v[18:19], v[58:59], v[96:97]
	v_mul_f64 v[20:21], v[62:63], v[138:139]
	v_fmac_f64_e32 v[40:41], v[136:137], v[62:63]
	v_fma_f64 v[58:59], v[152:153], v[36:37], -v[22:23]
	v_fma_f64 v[62:63], v[156:157], v[8:9], -v[12:13]
	v_mul_f64 v[36:37], v[8:9], v[158:159]
	s_waitcnt vmcnt(1)
	v_mul_f64 v[8:9], v[14:15], v[44:45]
	v_fma_f64 v[50:51], v[140:141], v[64:65], -v[50:51]
	v_fmac_f64_e32 v[36:37], v[156:157], v[10:11]
	v_fma_f64 v[64:65], v[42:43], v[38:39], -v[8:9]
	v_add_f64 v[8:9], v[110:111], -v[100:101]
	v_add_f64 v[10:11], v[108:109], -v[102:103]
	v_add_f64 v[22:23], v[8:9], v[10:11]
	v_add_f64 v[8:9], v[114:115], -v[122:123]
	v_add_f64 v[10:11], v[116:117], -v[126:127]
	v_add_f64 v[24:25], v[8:9], v[10:11]
	v_add_f64 v[8:9], v[120:121], -v[128:129]
	v_add_f64 v[10:11], v[124:125], -v[130:131]
	v_mul_f64 v[44:45], v[38:39], v[44:45]
	v_add_f64 v[38:39], v[8:9], v[10:11]
	v_add_f64 v[8:9], v[118:119], -v[104:105]
	v_add_f64 v[10:11], v[112:113], -v[106:107]
	v_fmac_f64_e32 v[44:45], v[42:43], v[14:15]
	v_add_f64 v[42:43], v[8:9], v[10:11]
	v_add_f64 v[10:11], v[128:129], v[130:131]
	v_fmac_f64_e32 v[18:19], v[94:95], v[72:73]
	v_add_f64 v[8:9], v[122:123], v[126:127]
	v_fma_f64 v[72:73], -0.5, v[10:11], v[60:61]
	v_fma_f64 v[66:67], -0.5, v[8:9], v[2:3]
	v_fma_f64 v[10:11], s[6:7], v[80:81], v[72:73]
	v_fma_f64 v[20:21], v[136:137], v[70:71], -v[20:21]
	v_fma_f64 v[8:9], s[16:17], v[68:69], v[66:67]
	v_add_f64 v[70:71], v[128:129], -v[130:131]
	v_fmac_f64_e32 v[10:11], s[10:11], v[78:79]
	v_fmac_f64_e32 v[8:9], s[14:15], v[70:71]
	;; [unrolled: 1-line block ×4, first 2 shown]
	v_mul_f64 v[12:13], v[10:11], s[18:19]
	v_fma_f64 v[82:83], v[8:9], s[14:15], -v[12:13]
	v_mul_f64 v[8:9], v[8:9], s[18:19]
	v_fma_f64 v[84:85], v[10:11], s[10:11], -v[8:9]
	v_add_f64 v[8:9], v[100:101], v[102:103]
	s_waitcnt lgkmcnt(0)
	v_fma_f64 v[86:87], -0.5, v[8:9], v[76:77]
	v_add_f64 v[8:9], v[104:105], v[106:107]
	v_fma_f64 v[94:95], -0.5, v[8:9], v[74:75]
	v_add_f64 v[96:97], v[110:111], -v[108:109]
	v_fma_f64 v[92:93], s[6:7], v[90:91], v[86:87]
	v_fma_f64 v[132:133], s[16:17], v[96:97], v[94:95]
	v_add_f64 v[134:135], v[100:101], -v[102:103]
	v_fmac_f64_e32 v[92:93], s[10:11], v[88:89]
	v_fmac_f64_e32 v[132:133], s[14:15], v[134:135]
	;; [unrolled: 1-line block ×4, first 2 shown]
	v_add_f64 v[12:13], v[92:93], -v[82:83]
	v_add_f64 v[8:9], v[132:133], -v[84:85]
	v_mul_f64 v[14:15], v[12:13], v[18:19]
	v_mul_f64 v[10:11], v[8:9], v[18:19]
	v_fma_f64 v[8:9], v[8:9], v[16:17], -v[14:15]
	v_fmac_f64_e32 v[10:11], v[12:13], v[16:17]
	v_add_f64 v[12:13], v[100:101], -v[110:111]
	v_add_f64 v[14:15], v[102:103], -v[108:109]
	v_add_f64 v[16:17], v[12:13], v[14:15]
	v_add_f64 v[12:13], v[122:123], -v[114:115]
	v_add_f64 v[14:15], v[126:127], -v[116:117]
	v_add_f64 v[18:19], v[12:13], v[14:15]
	;; [unrolled: 3-line block ×4, first 2 shown]
	v_add_f64 v[14:15], v[120:121], v[124:125]
	v_add_f64 v[12:13], v[114:115], v[116:117]
	v_fma_f64 v[142:143], -0.5, v[14:15], v[60:61]
	v_fma_f64 v[140:141], -0.5, v[12:13], v[2:3]
	v_fma_f64 v[14:15], s[16:17], v[78:79], v[142:143]
	v_fma_f64 v[12:13], s[6:7], v[70:71], v[140:141]
	v_fmac_f64_e32 v[14:15], s[10:11], v[80:81]
	v_fmac_f64_e32 v[12:13], s[14:15], v[68:69]
	;; [unrolled: 1-line block ×4, first 2 shown]
	v_mul_f64 v[144:145], v[14:15], s[12:13]
	v_fma_f64 v[144:145], v[12:13], s[16:17], -v[144:145]
	v_mul_f64 v[12:13], v[12:13], s[12:13]
	v_fma_f64 v[146:147], v[14:15], s[6:7], -v[12:13]
	v_add_f64 v[12:13], v[110:111], v[108:109]
	v_fma_f64 v[148:149], -0.5, v[12:13], v[76:77]
	v_add_f64 v[12:13], v[118:119], v[112:113]
	v_fma_f64 v[152:153], -0.5, v[12:13], v[74:75]
	v_fma_f64 v[150:151], s[16:17], v[88:89], v[148:149]
	v_fma_f64 v[154:155], s[6:7], v[134:135], v[152:153]
	v_fmac_f64_e32 v[150:151], s[10:11], v[90:91]
	v_fmac_f64_e32 v[154:155], s[14:15], v[96:97]
	;; [unrolled: 1-line block ×8, first 2 shown]
	v_add_f64 v[156:157], v[150:151], -v[144:145]
	v_add_f64 v[12:13], v[154:155], -v[146:147]
	v_fmac_f64_e32 v[148:149], s[6:7], v[88:89]
	v_fmac_f64_e32 v[142:143], s[12:13], v[136:137]
	;; [unrolled: 1-line block ×4, first 2 shown]
	v_mul_f64 v[158:159], v[156:157], v[40:41]
	v_mul_f64 v[14:15], v[12:13], v[40:41]
	v_fmac_f64_e32 v[148:149], s[14:15], v[90:91]
	v_fmac_f64_e32 v[152:153], s[10:11], v[96:97]
	v_mul_f64 v[40:41], v[140:141], s[16:17]
	v_mul_f64 v[136:137], v[142:143], s[6:7]
	v_fmac_f64_e32 v[148:149], s[12:13], v[16:17]
	v_fmac_f64_e32 v[152:153], s[12:13], v[138:139]
	;; [unrolled: 1-line block ×5, first 2 shown]
	v_fma_f64 v[12:13], v[12:13], v[20:21], -v[158:159]
	v_fmac_f64_e32 v[14:15], v[156:157], v[20:21]
	v_add_f64 v[20:21], v[148:149], -v[40:41]
	v_add_f64 v[16:17], v[152:153], -v[136:137]
	v_fmac_f64_e32 v[72:73], s[14:15], v[78:79]
	v_fmac_f64_e32 v[66:67], s[6:7], v[68:69]
	v_mul_f64 v[138:139], v[20:21], v[52:53]
	v_mul_f64 v[18:19], v[16:17], v[52:53]
	v_fmac_f64_e32 v[72:73], s[12:13], v[38:39]
	v_fmac_f64_e32 v[66:67], s[10:11], v[70:71]
	;; [unrolled: 1-line block ×3, first 2 shown]
	v_fma_f64 v[16:17], v[16:17], v[50:51], -v[138:139]
	v_fmac_f64_e32 v[18:19], v[20:21], v[50:51]
	v_fmac_f64_e32 v[86:87], s[16:17], v[90:91]
	;; [unrolled: 1-line block ×4, first 2 shown]
	v_mul_f64 v[50:51], v[72:73], s[10:11]
	v_fmac_f64_e32 v[86:87], s[14:15], v[88:89]
	v_fmac_f64_e32 v[94:95], s[12:13], v[42:43]
	v_mul_f64 v[42:43], v[66:67], s[14:15]
	v_fmac_f64_e32 v[50:51], s[18:19], v[66:67]
	v_fmac_f64_e32 v[86:87], s[12:13], v[22:23]
	;; [unrolled: 1-line block ×3, first 2 shown]
	v_add_f64 v[20:21], v[94:95], -v[50:51]
	v_add_f64 v[24:25], v[86:87], -v[42:43]
	v_mul_f64 v[22:23], v[20:21], v[28:29]
	v_mul_f64 v[38:39], v[24:25], v[28:29]
	v_fmac_f64_e32 v[22:23], v[24:25], v[26:27]
	v_add_f64 v[24:25], v[76:77], v[110:111]
	v_add_f64 v[24:25], v[24:25], v[100:101]
	;; [unrolled: 1-line block ×6, first 2 shown]
	v_fma_f64 v[20:21], v[20:21], v[26:27], -v[38:39]
	v_add_f64 v[26:27], v[74:75], v[118:119]
	v_add_f64 v[24:25], v[24:25], v[130:131]
	;; [unrolled: 1-line block ×10, first 2 shown]
	v_add_f64 v[28:29], v[52:53], -v[60:61]
	v_add_f64 v[24:25], v[66:67], -v[2:3]
	v_mul_f64 v[38:39], v[28:29], v[32:33]
	v_mul_f64 v[26:27], v[24:25], v[32:33]
	v_add_f64 v[32:33], v[92:93], v[82:83]
	v_fma_f64 v[24:25], v[24:25], v[30:31], -v[38:39]
	v_fmac_f64_e32 v[26:27], v[28:29], v[30:31]
	v_add_f64 v[28:29], v[132:133], v[84:85]
	v_mul_f64 v[38:39], v[32:33], v[56:57]
	v_mul_f64 v[30:31], v[28:29], v[56:57]
	v_fma_f64 v[28:29], v[28:29], v[54:55], -v[38:39]
	v_add_f64 v[38:39], v[150:151], v[144:145]
	v_fmac_f64_e32 v[30:31], v[32:33], v[54:55]
	v_add_f64 v[32:33], v[154:155], v[146:147]
	v_mul_f64 v[54:55], v[38:39], v[34:35]
	v_mul_f64 v[34:35], v[32:33], v[34:35]
	v_fma_f64 v[32:33], v[32:33], v[58:59], -v[54:55]
	v_add_f64 v[40:41], v[148:149], v[40:41]
	v_add_f64 v[54:55], v[152:153], v[136:137]
	v_fmac_f64_e32 v[34:35], v[38:39], v[58:59]
	v_mul_f64 v[56:57], v[40:41], v[36:37]
	v_mul_f64 v[38:39], v[54:55], v[36:37]
	v_fma_f64 v[36:37], v[54:55], v[62:63], -v[56:57]
	v_fmac_f64_e32 v[38:39], v[40:41], v[62:63]
	v_add_f64 v[54:55], v[86:87], v[42:43]
	v_add_f64 v[40:41], v[94:95], v[50:51]
	v_mul_f64 v[50:51], v[44:45], v[54:55]
	v_mul_f64 v[42:43], v[44:45], v[40:41]
	v_add_u32_e32 v45, v1, v0
	v_add_f64 v[0:1], v[52:53], v[60:61]
	s_waitcnt vmcnt(0)
	v_mul_f64 v[52:53], v[6:7], v[48:49]
	v_mul_f64 v[6:7], v[6:7], v[46:47]
	v_add_u32_e32 v44, s5, v98
	v_add_f64 v[56:57], v[66:67], v[2:3]
	v_fmac_f64_e32 v[6:7], v[4:5], v[48:49]
	v_fma_f64 v[40:41], v[64:65], v[40:41], -v[50:51]
	v_mad_u64_u32 v[50:51], s[0:1], s4, v45, v[44:45]
	v_fma_f64 v[52:53], v[4:5], v[46:47], -v[52:53]
	v_mul_f64 v[2:3], v[56:57], v[6:7]
	v_mov_b32_e32 v51, 0
	v_fmac_f64_e32 v[2:3], v[0:1], v[52:53]
	v_mul_f64 v[0:1], v[0:1], v[6:7]
	v_fmac_f64_e32 v[42:43], v[64:65], v[54:55]
	v_lshl_add_u64 v[54:55], v[50:51], 4, s[8:9]
	v_fma_f64 v[0:1], v[56:57], v[52:53], -v[0:1]
	global_store_dwordx4 v[54:55], v[0:3], off
	s_nop 1
	v_add_u32_e32 v0, 10, v45
	v_mad_u64_u32 v[0:1], s[0:1], s4, v0, v[44:45]
	v_mov_b32_e32 v1, v51
	v_lshl_add_u64 v[0:1], v[0:1], 4, s[8:9]
	global_store_dwordx4 v[0:1], v[40:43], off
	v_add_u32_e32 v0, 20, v45
	v_mad_u64_u32 v[0:1], s[0:1], s4, v0, v[44:45]
	v_mov_b32_e32 v1, v51
	v_lshl_add_u64 v[0:1], v[0:1], 4, s[8:9]
	global_store_dwordx4 v[0:1], v[36:39], off
	;; [unrolled: 5-line block ×9, first 2 shown]
.LBB0_24:
	s_endpgm
	.section	.rodata,"a",@progbits
	.p2align	6, 0x0
	.amdhsa_kernel fft_rtc_fwd_len100_factors_10_10_wgs_190_tpt_10_dim2_dp_ip_CI_sbcc_twdbase8_3step_dirReg_intrinsicReadWrite
		.amdhsa_group_segment_fixed_size 0
		.amdhsa_private_segment_fixed_size 0
		.amdhsa_kernarg_size 88
		.amdhsa_user_sgpr_count 2
		.amdhsa_user_sgpr_dispatch_ptr 0
		.amdhsa_user_sgpr_queue_ptr 0
		.amdhsa_user_sgpr_kernarg_segment_ptr 1
		.amdhsa_user_sgpr_dispatch_id 0
		.amdhsa_user_sgpr_kernarg_preload_length 0
		.amdhsa_user_sgpr_kernarg_preload_offset 0
		.amdhsa_user_sgpr_private_segment_size 0
		.amdhsa_uses_dynamic_stack 0
		.amdhsa_enable_private_segment 0
		.amdhsa_system_sgpr_workgroup_id_x 1
		.amdhsa_system_sgpr_workgroup_id_y 0
		.amdhsa_system_sgpr_workgroup_id_z 0
		.amdhsa_system_sgpr_workgroup_info 0
		.amdhsa_system_vgpr_workitem_id 0
		.amdhsa_next_free_vgpr 163
		.amdhsa_next_free_sgpr 22
		.amdhsa_accum_offset 164
		.amdhsa_reserve_vcc 1
		.amdhsa_float_round_mode_32 0
		.amdhsa_float_round_mode_16_64 0
		.amdhsa_float_denorm_mode_32 3
		.amdhsa_float_denorm_mode_16_64 3
		.amdhsa_dx10_clamp 1
		.amdhsa_ieee_mode 1
		.amdhsa_fp16_overflow 0
		.amdhsa_tg_split 0
		.amdhsa_exception_fp_ieee_invalid_op 0
		.amdhsa_exception_fp_denorm_src 0
		.amdhsa_exception_fp_ieee_div_zero 0
		.amdhsa_exception_fp_ieee_overflow 0
		.amdhsa_exception_fp_ieee_underflow 0
		.amdhsa_exception_fp_ieee_inexact 0
		.amdhsa_exception_int_div_zero 0
	.end_amdhsa_kernel
	.text
.Lfunc_end0:
	.size	fft_rtc_fwd_len100_factors_10_10_wgs_190_tpt_10_dim2_dp_ip_CI_sbcc_twdbase8_3step_dirReg_intrinsicReadWrite, .Lfunc_end0-fft_rtc_fwd_len100_factors_10_10_wgs_190_tpt_10_dim2_dp_ip_CI_sbcc_twdbase8_3step_dirReg_intrinsicReadWrite
                                        ; -- End function
	.section	.AMDGPU.csdata,"",@progbits
; Kernel info:
; codeLenInByte = 6024
; NumSgprs: 28
; NumVgprs: 163
; NumAgprs: 0
; TotalNumVgprs: 163
; ScratchSize: 0
; MemoryBound: 0
; FloatMode: 240
; IeeeMode: 1
; LDSByteSize: 0 bytes/workgroup (compile time only)
; SGPRBlocks: 3
; VGPRBlocks: 20
; NumSGPRsForWavesPerEU: 28
; NumVGPRsForWavesPerEU: 163
; AccumOffset: 164
; Occupancy: 3
; WaveLimiterHint : 1
; COMPUTE_PGM_RSRC2:SCRATCH_EN: 0
; COMPUTE_PGM_RSRC2:USER_SGPR: 2
; COMPUTE_PGM_RSRC2:TRAP_HANDLER: 0
; COMPUTE_PGM_RSRC2:TGID_X_EN: 1
; COMPUTE_PGM_RSRC2:TGID_Y_EN: 0
; COMPUTE_PGM_RSRC2:TGID_Z_EN: 0
; COMPUTE_PGM_RSRC2:TIDIG_COMP_CNT: 0
; COMPUTE_PGM_RSRC3_GFX90A:ACCUM_OFFSET: 40
; COMPUTE_PGM_RSRC3_GFX90A:TG_SPLIT: 0
	.text
	.p2alignl 6, 3212836864
	.fill 256, 4, 3212836864
	.type	__hip_cuid_564aea204e06e97a,@object ; @__hip_cuid_564aea204e06e97a
	.section	.bss,"aw",@nobits
	.globl	__hip_cuid_564aea204e06e97a
__hip_cuid_564aea204e06e97a:
	.byte	0                               ; 0x0
	.size	__hip_cuid_564aea204e06e97a, 1

	.ident	"AMD clang version 19.0.0git (https://github.com/RadeonOpenCompute/llvm-project roc-6.4.0 25133 c7fe45cf4b819c5991fe208aaa96edf142730f1d)"
	.section	".note.GNU-stack","",@progbits
	.addrsig
	.addrsig_sym __hip_cuid_564aea204e06e97a
	.amdgpu_metadata
---
amdhsa.kernels:
  - .agpr_count:     0
    .args:
      - .actual_access:  read_only
        .address_space:  global
        .offset:         0
        .size:           8
        .value_kind:     global_buffer
      - .address_space:  global
        .offset:         8
        .size:           8
        .value_kind:     global_buffer
      - .actual_access:  read_only
        .address_space:  global
        .offset:         16
        .size:           8
        .value_kind:     global_buffer
      - .actual_access:  read_only
        .address_space:  global
        .offset:         24
        .size:           8
        .value_kind:     global_buffer
      - .offset:         32
        .size:           8
        .value_kind:     by_value
      - .actual_access:  read_only
        .address_space:  global
        .offset:         40
        .size:           8
        .value_kind:     global_buffer
      - .actual_access:  read_only
        .address_space:  global
        .offset:         48
        .size:           8
        .value_kind:     global_buffer
      - .offset:         56
        .size:           4
        .value_kind:     by_value
      - .actual_access:  read_only
        .address_space:  global
        .offset:         64
        .size:           8
        .value_kind:     global_buffer
      - .actual_access:  read_only
        .address_space:  global
        .offset:         72
        .size:           8
        .value_kind:     global_buffer
      - .address_space:  global
        .offset:         80
        .size:           8
        .value_kind:     global_buffer
    .group_segment_fixed_size: 0
    .kernarg_segment_align: 8
    .kernarg_segment_size: 88
    .language:       OpenCL C
    .language_version:
      - 2
      - 0
    .max_flat_workgroup_size: 190
    .name:           fft_rtc_fwd_len100_factors_10_10_wgs_190_tpt_10_dim2_dp_ip_CI_sbcc_twdbase8_3step_dirReg_intrinsicReadWrite
    .private_segment_fixed_size: 0
    .sgpr_count:     28
    .sgpr_spill_count: 0
    .symbol:         fft_rtc_fwd_len100_factors_10_10_wgs_190_tpt_10_dim2_dp_ip_CI_sbcc_twdbase8_3step_dirReg_intrinsicReadWrite.kd
    .uniform_work_group_size: 1
    .uses_dynamic_stack: false
    .vgpr_count:     163
    .vgpr_spill_count: 0
    .wavefront_size: 64
amdhsa.target:   amdgcn-amd-amdhsa--gfx950
amdhsa.version:
  - 1
  - 2
...

	.end_amdgpu_metadata
